;; amdgpu-corpus repo=ROCm/rocFFT kind=compiled arch=gfx950 opt=O3
	.text
	.amdgcn_target "amdgcn-amd-amdhsa--gfx950"
	.amdhsa_code_object_version 6
	.protected	bluestein_single_back_len576_dim1_sp_op_CI_CI ; -- Begin function bluestein_single_back_len576_dim1_sp_op_CI_CI
	.globl	bluestein_single_back_len576_dim1_sp_op_CI_CI
	.p2align	8
	.type	bluestein_single_back_len576_dim1_sp_op_CI_CI,@function
bluestein_single_back_len576_dim1_sp_op_CI_CI: ; @bluestein_single_back_len576_dim1_sp_op_CI_CI
; %bb.0:
	s_load_dwordx4 s[8:11], s[0:1], 0x28
	v_mul_u32_u24_e32 v1, 0x2ab, v0
	v_add_u32_sdwa v50, s2, v1 dst_sel:DWORD dst_unused:UNUSED_PAD src0_sel:DWORD src1_sel:WORD_1
	v_mov_b32_e32 v51, 0
	s_waitcnt lgkmcnt(0)
	v_cmp_gt_u64_e32 vcc, s[8:9], v[50:51]
	s_and_saveexec_b64 s[2:3], vcc
	s_cbranch_execz .LBB0_15
; %bb.1:
	s_load_dwordx2 s[8:9], s[0:1], 0x0
	s_load_dwordx2 s[12:13], s[0:1], 0x38
	s_movk_i32 s2, 0x60
	v_mul_lo_u16_sdwa v1, v1, s2 dst_sel:DWORD dst_unused:UNUSED_PAD src0_sel:WORD_1 src1_sel:DWORD
	v_sub_u16_e32 v51, v0, v1
	v_cmp_gt_u16_e64 s[2:3], 36, v51
	v_lshlrev_b32_e32 v48, 3, v51
	s_and_saveexec_b64 s[14:15], s[2:3]
	s_cbranch_execz .LBB0_3
; %bb.2:
	s_load_dwordx2 s[4:5], s[0:1], 0x18
	v_mov_b32_e32 v0, s10
	v_mov_b32_e32 v1, s11
	;; [unrolled: 1-line block ×4, first 2 shown]
	s_waitcnt lgkmcnt(0)
	s_load_dwordx4 s[4:7], s[4:5], 0x0
	v_lshl_add_u64 v[30:31], s[8:9], 0, v[48:49]
	v_add_co_u32_e32 v30, vcc, 0x1000, v30
	s_waitcnt lgkmcnt(0)
	v_mad_u64_u32 v[2:3], s[10:11], s6, v50, 0
	v_mad_u64_u32 v[4:5], s[10:11], s4, v51, 0
	v_mov_b32_e32 v6, v3
	v_mov_b32_e32 v8, v5
	v_mad_u64_u32 v[6:7], s[6:7], s7, v50, v[6:7]
	v_mov_b32_e32 v3, v6
	v_mad_u64_u32 v[6:7], s[6:7], s5, v51, v[8:9]
	v_mov_b32_e32 v5, v6
	v_lshl_add_u64 v[0:1], v[2:3], 3, v[0:1]
	v_lshl_add_u64 v[2:3], v[4:5], 3, v[0:1]
	v_mad_u64_u32 v[4:5], s[6:7], s4, v68, v[2:3]
	s_mulk_i32 s5, 0x120
	v_add_u32_e32 v5, s5, v5
	v_mad_u64_u32 v[10:11], s[6:7], s4, v68, v[4:5]
	v_add_u32_e32 v11, s5, v11
	v_mad_u64_u32 v[12:13], s[6:7], s4, v68, v[10:11]
	v_add_u32_e32 v13, s5, v13
	global_load_dwordx2 v[0:1], v[2:3], off
	v_addc_co_u32_e32 v31, vcc, 0, v31, vcc
	global_load_dwordx2 v[2:3], v[4:5], off
	global_load_dwordx2 v[8:9], v48, s[8:9]
	global_load_dwordx2 v[6:7], v48, s[8:9] offset:288
	s_nop 0
	global_load_dwordx2 v[4:5], v48, s[8:9] offset:576
	global_load_dwordx2 v[14:15], v48, s[8:9] offset:864
	;; [unrolled: 1-line block ×9, first 2 shown]
	global_load_dwordx2 v[32:33], v[12:13], off
	v_mad_u64_u32 v[12:13], s[6:7], s4, v68, v[12:13]
	global_load_dwordx2 v[10:11], v[10:11], off
	v_add_u32_e32 v13, s5, v13
	global_load_dwordx2 v[34:35], v[12:13], off
	v_mad_u64_u32 v[12:13], s[6:7], s4, v68, v[12:13]
	v_add_u32_e32 v13, s5, v13
	global_load_dwordx2 v[36:37], v[12:13], off
	v_mad_u64_u32 v[12:13], s[6:7], s4, v68, v[12:13]
	;; [unrolled: 3-line block ×3, first 2 shown]
	v_add_u32_e32 v13, s5, v13
	global_load_dwordx2 v[40:41], v[12:13], off
	global_load_dwordx2 v[42:43], v[30:31], off offset:224
	v_mad_u64_u32 v[12:13], s[6:7], s4, v68, v[12:13]
	v_add_u32_e32 v13, s5, v13
	global_load_dwordx2 v[30:31], v[12:13], off
	v_mad_u64_u32 v[12:13], s[6:7], s4, v68, v[12:13]
	v_add_u32_e32 v13, s5, v13
	global_load_dwordx2 v[44:45], v[12:13], off
	;; [unrolled: 3-line block ×4, first 2 shown]
	global_load_dwordx2 v[54:55], v48, s[8:9] offset:3168
	v_mad_u64_u32 v[12:13], s[6:7], s4, v68, v[12:13]
	v_add_u32_e32 v13, s5, v13
	global_load_dwordx2 v[56:57], v[12:13], off
	global_load_dwordx2 v[58:59], v48, s[8:9] offset:3456
	v_mad_u64_u32 v[12:13], s[6:7], s4, v68, v[12:13]
	v_add_u32_e32 v13, s5, v13
	global_load_dwordx2 v[60:61], v[12:13], off
	;; [unrolled: 4-line block ×4, first 2 shown]
	s_waitcnt vmcnt(29)
	v_mul_f32_e32 v68, v1, v9
	v_mul_f32_e32 v9, v0, v9
	v_fmac_f32_e32 v68, v0, v8
	v_fma_f32 v69, v1, v8, -v9
	s_waitcnt vmcnt(28)
	v_mul_f32_e32 v0, v3, v7
	v_mul_f32_e32 v1, v2, v7
	v_fmac_f32_e32 v0, v2, v6
	v_fma_f32 v1, v3, v6, -v1
	ds_write2_b64 v48, v[68:69], v[0:1] offset1:36
	s_waitcnt vmcnt(17)
	v_mul_f32_e32 v0, v11, v5
	v_mul_f32_e32 v1, v10, v5
	v_mul_f32_e32 v2, v33, v15
	v_mul_f32_e32 v3, v32, v15
	v_fmac_f32_e32 v0, v10, v4
	v_fma_f32 v1, v11, v4, -v1
	v_fmac_f32_e32 v2, v32, v14
	v_fma_f32 v3, v33, v14, -v3
	ds_write2_b64 v48, v[0:1], v[2:3] offset0:72 offset1:108
	s_waitcnt vmcnt(16)
	v_mul_f32_e32 v0, v35, v17
	v_mul_f32_e32 v1, v34, v17
	s_waitcnt vmcnt(15)
	v_mul_f32_e32 v2, v37, v19
	v_mul_f32_e32 v3, v36, v19
	v_fmac_f32_e32 v0, v34, v16
	v_fma_f32 v1, v35, v16, -v1
	v_fmac_f32_e32 v2, v36, v18
	v_fma_f32 v3, v37, v18, -v3
	ds_write2_b64 v48, v[0:1], v[2:3] offset0:144 offset1:180
	s_waitcnt vmcnt(14)
	v_mul_f32_e32 v0, v39, v21
	v_mul_f32_e32 v1, v38, v21
	s_waitcnt vmcnt(13)
	v_mul_f32_e32 v2, v41, v23
	v_mul_f32_e32 v3, v40, v23
	;; [unrolled: 11-line block ×3, first 2 shown]
	v_fmac_f32_e32 v0, v30, v24
	v_fma_f32 v1, v31, v24, -v1
	v_fmac_f32_e32 v2, v44, v26
	v_fma_f32 v3, v45, v26, -v3
	v_add_u32_e32 v4, 0x800, v48
	ds_write2_b64 v4, v[0:1], v[2:3] offset0:32 offset1:68
	s_waitcnt vmcnt(9)
	v_mul_f32_e32 v0, v47, v29
	v_mul_f32_e32 v1, v46, v29
	s_waitcnt vmcnt(7)
	v_mul_f32_e32 v2, v53, v55
	v_mul_f32_e32 v3, v52, v55
	v_fmac_f32_e32 v0, v46, v28
	v_fma_f32 v1, v47, v28, -v1
	v_fmac_f32_e32 v2, v52, v54
	v_fma_f32 v3, v53, v54, -v3
	ds_write2_b64 v4, v[0:1], v[2:3] offset0:104 offset1:140
	s_waitcnt vmcnt(5)
	v_mul_f32_e32 v0, v57, v59
	v_mul_f32_e32 v1, v56, v59
	s_waitcnt vmcnt(3)
	v_mul_f32_e32 v2, v61, v63
	v_mul_f32_e32 v3, v60, v63
	v_fmac_f32_e32 v0, v56, v58
	v_fma_f32 v1, v57, v58, -v1
	v_fmac_f32_e32 v2, v60, v62
	v_fma_f32 v3, v61, v62, -v3
	ds_write2_b64 v4, v[0:1], v[2:3] offset0:176 offset1:212
	s_waitcnt vmcnt(1)
	v_mul_f32_e32 v0, v65, v67
	v_mul_f32_e32 v1, v64, v67
	s_waitcnt vmcnt(0)
	v_mul_f32_e32 v2, v13, v43
	v_mul_f32_e32 v3, v12, v43
	v_fmac_f32_e32 v0, v64, v66
	v_fma_f32 v1, v65, v66, -v1
	v_fmac_f32_e32 v2, v12, v42
	v_fma_f32 v3, v13, v42, -v3
	v_add_u32_e32 v4, 0xc00, v48
	ds_write2_b64 v4, v[0:1], v[2:3] offset0:120 offset1:156
.LBB0_3:
	s_or_b64 exec, exec, s[14:15]
	s_load_dwordx2 s[4:5], s[0:1], 0x20
	s_load_dwordx2 s[10:11], s[0:1], 0x8
	s_waitcnt lgkmcnt(0)
	s_barrier
	s_waitcnt lgkmcnt(0)
                                        ; implicit-def: $vgpr4
                                        ; implicit-def: $vgpr16
                                        ; implicit-def: $vgpr0
                                        ; implicit-def: $vgpr20
                                        ; implicit-def: $vgpr8
                                        ; implicit-def: $vgpr24
                                        ; implicit-def: $vgpr30
                                        ; implicit-def: $vgpr14
	s_and_saveexec_b64 s[0:1], s[2:3]
	s_cbranch_execz .LBB0_5
; %bb.4:
	ds_read2_b64 v[4:7], v48 offset1:36
	ds_read2_b64 v[0:3], v48 offset0:72 offset1:108
	ds_read2_b64 v[8:11], v48 offset0:144 offset1:180
	;; [unrolled: 1-line block ×3, first 2 shown]
	v_add_u32_e32 v24, 0x800, v48
	ds_read2_b64 v[16:19], v24 offset0:32 offset1:68
	ds_read2_b64 v[20:23], v24 offset0:104 offset1:140
	;; [unrolled: 1-line block ×3, first 2 shown]
	v_add_u32_e32 v28, 0xc00, v48
	ds_read2_b64 v[28:31], v28 offset0:120 offset1:156
.LBB0_5:
	s_or_b64 exec, exec, s[0:1]
	s_waitcnt lgkmcnt(3)
	v_pk_add_f32 v[32:33], v[4:5], v[16:17] neg_lo:[0,1] neg_hi:[0,1]
	s_waitcnt lgkmcnt(2)
	v_pk_add_f32 v[16:17], v[0:1], v[20:21] neg_lo:[0,1] neg_hi:[0,1]
	;; [unrolled: 2-line block ×3, first 2 shown]
	v_fma_f32 v21, v0, 2.0, -v16
	v_fma_f32 v34, v1, 2.0, -v17
	s_waitcnt lgkmcnt(0)
	v_pk_add_f32 v[0:1], v[12:13], v[28:29] neg_lo:[0,1] neg_hi:[0,1]
	v_mov_b32_e32 v36, v25
	v_fma_f32 v12, v12, 2.0, -v0
	v_fma_f32 v20, v13, 2.0, -v1
	v_sub_f32_e32 v13, v21, v12
	v_sub_f32_e32 v20, v34, v20
	v_fma_f32 v28, v21, 2.0, -v13
	v_mov_b32_e32 v21, v24
	v_mov_b32_e32 v37, v33
	v_pk_add_f32 v[38:39], v[20:21], v[32:33]
	v_mov_b32_e32 v21, v0
	v_mov_b32_e32 v0, v1
	;; [unrolled: 1-line block ×3, first 2 shown]
	v_pk_add_f32 v[36:37], v[32:33], v[36:37] neg_lo:[0,1] neg_hi:[0,1]
	v_pk_add_f32 v[40:41], v[16:17], v[0:1] neg_lo:[0,1] neg_hi:[0,1]
	v_pk_add_f32 v[0:1], v[20:21], v[16:17]
	v_mov_b32_e32 v37, v39
	v_mov_b32_e32 v41, v1
	v_pk_fma_f32 v[38:39], v[32:33], 2.0, v[36:37] op_sel_hi:[1,0,1] neg_lo:[0,0,1] neg_hi:[0,0,1]
	v_pk_fma_f32 v[0:1], v[16:17], 2.0, v[40:41] op_sel_hi:[1,0,1] neg_lo:[0,0,1] neg_hi:[0,0,1]
	s_mov_b32 s0, 0x3f3504f3
	v_pk_mul_f32 v[16:17], v[0:1], s[0:1] op_sel_hi:[1,0]
	v_pk_fma_f32 v[42:43], v[0:1], s[0:1], v[38:39] op_sel_hi:[1,0,1] neg_lo:[1,0,0] neg_hi:[1,0,0]
	v_pk_fma_f32 v[4:5], v[4:5], 2.0, v[32:33] op_sel_hi:[1,0,1] neg_lo:[0,0,1] neg_hi:[0,0,1]
	v_pk_fma_f32 v[8:9], v[8:9], 2.0, v[24:25] op_sel_hi:[1,0,1] neg_lo:[0,0,1] neg_hi:[0,0,1]
	v_pk_add_f32 v[0:1], v[42:43], v[16:17] op_sel:[0,1] op_sel_hi:[1,0] neg_lo:[0,1] neg_hi:[0,1]
	v_pk_add_f32 v[16:17], v[42:43], v[16:17] op_sel:[0,1] op_sel_hi:[1,0]
	v_pk_add_f32 v[8:9], v[4:5], v[8:9] neg_lo:[0,1] neg_hi:[0,1]
	v_mov_b32_e32 v1, v17
	v_mov_b32_e32 v12, v8
	;; [unrolled: 1-line block ×3, first 2 shown]
	v_pk_fma_f32 v[16:17], v[38:39], 2.0, v[0:1] op_sel_hi:[1,0,1] neg_lo:[0,0,1] neg_hi:[0,0,1]
	v_pk_add_f32 v[38:39], v[8:9], v[20:21] neg_lo:[0,1] neg_hi:[0,1]
	v_pk_add_f32 v[32:33], v[12:13], v[8:9]
	v_pk_fma_f32 v[24:25], v[4:5], 2.0, v[8:9] op_sel_hi:[1,0,1] neg_lo:[0,0,1] neg_hi:[0,0,1]
	v_mov_b32_e32 v39, v33
	v_pk_fma_f32 v[4:5], v[8:9], 2.0, v[38:39] op_sel_hi:[1,0,1] neg_lo:[0,0,1] neg_hi:[0,0,1]
	v_pk_mul_f32 v[8:9], v[40:41], s[0:1] op_sel_hi:[1,0]
	v_pk_fma_f32 v[12:13], v[40:41], s[0:1], v[36:37] op_sel_hi:[1,0,1]
	v_fma_f32 v35, v34, 2.0, -v20
	v_pk_add_f32 v[40:41], v[12:13], v[8:9] op_sel:[0,1] op_sel_hi:[1,0] neg_lo:[0,1] neg_hi:[0,1]
	v_pk_add_f32 v[8:9], v[12:13], v[8:9] op_sel:[0,1] op_sel_hi:[1,0]
	v_pk_add_f32 v[12:13], v[6:7], v[18:19] neg_lo:[0,1] neg_hi:[0,1]
	v_pk_add_f32 v[18:19], v[10:11], v[26:27] neg_lo:[0,1] neg_hi:[0,1]
	v_mov_b32_e32 v41, v9
	v_pk_add_f32 v[20:21], v[2:3], v[22:23] neg_lo:[0,1] neg_hi:[0,1]
	v_pk_add_f32 v[22:23], v[14:15], v[30:31] neg_lo:[0,1] neg_hi:[0,1]
	v_pk_add_f32 v[26:27], v[12:13], v[18:19] op_sel:[1,0] op_sel_hi:[0,1]
	v_pk_add_f32 v[30:31], v[12:13], v[18:19] op_sel:[1,0] op_sel_hi:[0,1] neg_lo:[0,1] neg_hi:[0,1]
	v_pk_fma_f32 v[8:9], v[36:37], 2.0, v[40:41] op_sel_hi:[1,0,1] neg_lo:[0,0,1] neg_hi:[0,0,1]
	v_mov_b32_e32 v27, v31
	v_pk_add_f32 v[30:31], v[20:21], v[22:23] op_sel:[1,0] op_sel_hi:[0,1]
	v_pk_add_f32 v[36:37], v[20:21], v[22:23] op_sel:[1,0] op_sel_hi:[0,1] neg_lo:[0,1] neg_hi:[0,1]
	v_mov_b32_e32 v31, v37
	v_pk_fma_f32 v[36:37], v[12:13], 2.0, v[26:27] op_sel:[1,0,0] op_sel_hi:[0,0,1] neg_lo:[0,0,1] neg_hi:[0,0,1]
	v_pk_fma_f32 v[42:43], v[20:21], 2.0, v[30:31] op_sel:[1,0,0] op_sel_hi:[0,0,1] neg_lo:[0,0,1] neg_hi:[0,0,1]
	v_pk_mul_f32 v[44:45], v[42:43], s[0:1] op_sel_hi:[1,0]
	v_pk_fma_f32 v[42:43], v[42:43], s[0:1], v[36:37] op_sel_hi:[1,0,1] neg_lo:[1,0,0] neg_hi:[1,0,0]
	s_mov_b32 s6, 0x3f6c835e
	v_pk_add_f32 v[46:47], v[42:43], v[44:45] op_sel:[0,1] op_sel_hi:[1,0]
	v_pk_add_f32 v[42:43], v[42:43], v[44:45] op_sel:[0,1] op_sel_hi:[1,0] neg_lo:[0,1] neg_hi:[0,1]
	v_mov_b32_e32 v44, v2
	v_mov_b32_e32 v45, v6
	;; [unrolled: 1-line block ×12, first 2 shown]
	v_pk_fma_f32 v[10:11], v[44:45], 2.0, v[10:11] op_sel_hi:[1,0,1] neg_lo:[0,0,1] neg_hi:[0,0,1]
	v_pk_fma_f32 v[2:3], v[2:3], 2.0, v[20:21] op_sel_hi:[1,0,1] neg_lo:[0,0,1] neg_hi:[0,0,1]
	;; [unrolled: 1-line block ×4, first 2 shown]
	v_pk_add_f32 v[6:7], v[10:11], v[6:7] neg_lo:[0,1] neg_hi:[0,1]
	v_pk_add_f32 v[12:13], v[2:3], v[12:13] neg_lo:[0,1] neg_hi:[0,1]
	v_fma_f32 v29, v10, 2.0, -v6
	v_fma_f32 v34, v3, 2.0, -v13
	v_mov_b32_e32 v10, v11
	v_mov_b32_e32 v11, v2
	;; [unrolled: 1-line block ×4, first 2 shown]
	v_pk_fma_f32 v[10:11], v[10:11], 2.0, v[2:3] op_sel_hi:[1,0,1] neg_lo:[0,0,1] neg_hi:[0,0,1]
	v_pk_add_f32 v[18:19], v[6:7], v[12:13]
	v_pk_add_f32 v[2:3], v[6:7], v[12:13] neg_lo:[0,1] neg_hi:[0,1]
	v_mov_b32_e32 v42, v46
	v_mov_b32_e32 v19, v3
	v_fma_f32 v23, v7, 2.0, -v3
	v_pk_mul_f32 v[2:3], v[30:31], s[0:1] op_sel_hi:[1,0]
	v_pk_fma_f32 v[6:7], v[30:31], s[0:1], v[26:27] op_sel_hi:[1,0,1]
	v_fma_f32 v22, v12, 2.0, -v18
	v_pk_add_f32 v[30:31], v[6:7], v[2:3] op_sel:[0,1] op_sel_hi:[1,0]
	v_pk_add_f32 v[44:45], v[6:7], v[2:3] op_sel:[0,1] op_sel_hi:[1,0] neg_lo:[0,1] neg_hi:[0,1]
	v_mov_b32_e32 v2, v24
	v_mov_b32_e32 v3, v10
	v_pk_add_f32 v[28:29], v[2:3], v[28:29] neg_lo:[0,1] neg_hi:[0,1]
	v_mov_b32_e32 v2, v11
	v_mov_b32_e32 v3, v25
	v_pk_add_f32 v[34:35], v[2:3], v[34:35] neg_lo:[0,1] neg_hi:[0,1]
	v_pk_fma_f32 v[20:21], v[36:37], 2.0, v[42:43] op_sel_hi:[1,0,1] neg_lo:[0,0,1] neg_hi:[0,0,1]
	v_mov_b32_e32 v2, v28
	v_mov_b32_e32 v3, v35
	;; [unrolled: 1-line block ×4, first 2 shown]
	v_pk_mul_f32 v[14:15], v[20:21], s[6:7] op_sel_hi:[1,0]
	v_pk_fma_f32 v[6:7], v[24:25], 2.0, v[2:3] op_sel_hi:[1,0,1] neg_lo:[0,0,1] neg_hi:[0,0,1]
	v_pk_fma_f32 v[10:11], v[10:11], 2.0, v[12:13] op_sel_hi:[1,0,1] neg_lo:[0,0,1] neg_hi:[0,0,1]
	s_mov_b32 s14, 0x3ec3ef15
	v_pk_add_f32 v[12:13], v[6:7], v[10:11] neg_lo:[0,1] neg_hi:[0,1]
	v_pk_add_f32 v[10:11], v[16:17], v[14:15] op_sel:[0,1] op_sel_hi:[1,0] neg_lo:[0,1] neg_hi:[0,1]
	v_mov_b32_e32 v44, v30
	v_pk_fma_f32 v[14:15], v[20:21], s[14:15], v[10:11] op_sel_hi:[1,0,1] neg_lo:[1,0,0] neg_hi:[1,0,0]
	v_pk_fma_f32 v[10:11], v[20:21], s[14:15], v[10:11] op_sel_hi:[1,0,1]
	v_pk_fma_f32 v[26:27], v[26:27], 2.0, v[44:45] op_sel_hi:[1,0,1] neg_lo:[0,0,1] neg_hi:[0,0,1]
	v_mov_b32_e32 v15, v11
	v_pk_fma_f32 v[10:11], v[22:23], s[0:1], v[4:5] op_sel:[0,0,1] op_sel_hi:[1,0,0] neg_lo:[1,0,0] neg_hi:[1,0,0]
	v_pk_mul_f32 v[36:37], v[26:27], s[14:15] op_sel_hi:[1,0]
	v_pk_fma_f32 v[20:21], v[22:23], s[0:1], v[10:11] op_sel:[0,0,1] op_sel_hi:[1,0,0] neg_lo:[1,0,0] neg_hi:[1,0,0]
	v_pk_fma_f32 v[10:11], v[22:23], s[0:1], v[10:11] op_sel:[0,0,1] op_sel_hi:[1,0,0]
	v_pk_mul_f32 v[52:53], v[42:43], s[14:15] op_sel_hi:[1,0]
	v_mov_b32_e32 v21, v11
	v_pk_add_f32 v[10:11], v[8:9], v[36:37] op_sel:[0,1] op_sel_hi:[1,0] neg_lo:[0,1] neg_hi:[0,1]
	v_pk_add_f32 v[24:25], v[28:29], v[34:35] neg_lo:[0,1] neg_hi:[0,1]
	v_pk_fma_f32 v[22:23], v[26:27], s[6:7], v[10:11] op_sel_hi:[1,0,1] neg_lo:[1,0,0] neg_hi:[1,0,0]
	v_pk_fma_f32 v[10:11], v[26:27], s[6:7], v[10:11] op_sel_hi:[1,0,1]
	v_pk_mul_f32 v[54:55], v[44:45], s[6:7] op_sel_hi:[1,0]
	v_mov_b32_e32 v23, v11
	v_pk_add_f32 v[10:11], v[28:29], v[34:35]
	v_lshlrev_b16_e32 v77, 4, v51
	v_mov_b32_e32 v25, v11
	v_pk_add_f32 v[10:11], v[52:53], v[0:1] op_sel:[1,0] op_sel_hi:[0,1]
	v_pk_fma_f32 v[26:27], v[46:47], s[6:7], v[10:11] op_sel_hi:[1,0,1] neg_lo:[1,0,0] neg_hi:[1,0,0]
	v_pk_fma_f32 v[10:11], v[42:43], s[6:7], v[10:11] op_sel_hi:[1,0,1]
	s_nop 0
	v_mov_b32_e32 v27, v11
	v_mov_b32_e32 v10, v33
	;; [unrolled: 1-line block ×3, first 2 shown]
	v_pk_fma_f32 v[10:11], v[18:19], s[0:1], v[10:11] op_sel_hi:[1,0,1]
	s_barrier
	v_pk_fma_f32 v[32:33], v[18:19], s[0:1], v[10:11] op_sel:[0,0,1] op_sel_hi:[1,0,0] neg_lo:[1,0,0] neg_hi:[1,0,0]
	v_pk_fma_f32 v[10:11], v[18:19], s[0:1], v[10:11] op_sel:[0,0,1] op_sel_hi:[1,0,0]
	s_nop 0
	v_mov_b32_e32 v33, v11
	v_pk_add_f32 v[10:11], v[38:39], v[38:39]
	s_nop 0
	v_pk_add_f32 v[28:29], v[10:11], v[32:33] neg_lo:[0,1] neg_hi:[0,1]
	v_pk_add_f32 v[10:11], v[54:55], v[40:41] op_sel:[1,0] op_sel_hi:[0,1]
	v_pk_fma_f32 v[34:35], v[30:31], s[14:15], v[10:11] op_sel_hi:[1,0,1] neg_lo:[1,0,0] neg_hi:[1,0,0]
	v_pk_fma_f32 v[10:11], v[44:45], s[14:15], v[10:11] op_sel_hi:[1,0,1]
	s_nop 0
	v_mov_b32_e32 v35, v11
	v_pk_fma_f32 v[30:31], v[40:41], 2.0, v[34:35] op_sel_hi:[1,0,1] neg_lo:[0,0,1] neg_hi:[0,0,1]
	s_and_saveexec_b64 s[0:1], s[2:3]
	s_cbranch_execz .LBB0_7
; %bb.6:
	v_lshlrev_b32_e32 v10, 3, v77
	v_pk_fma_f32 v[36:37], v[6:7], 2.0, v[12:13] op_sel_hi:[1,0,1] neg_lo:[0,0,1] neg_hi:[0,0,1]
	v_pk_fma_f32 v[4:5], v[4:5], 2.0, v[20:21] op_sel_hi:[1,0,1] neg_lo:[0,0,1] neg_hi:[0,0,1]
	;; [unrolled: 1-line block ×4, first 2 shown]
	ds_write_b128 v10, v[4:7] offset:16
	v_pk_fma_f32 v[2:3], v[2:3], 2.0, v[24:25] op_sel_hi:[1,0,1] neg_lo:[0,0,1] neg_hi:[0,0,1]
	v_pk_fma_f32 v[4:5], v[0:1], 2.0, v[26:27] op_sel_hi:[1,0,1] neg_lo:[0,0,1] neg_hi:[0,0,1]
	ds_write_b128 v10, v[36:39]
	ds_write_b128 v10, v[2:5] offset:32
	ds_write_b128 v10, v[28:31] offset:48
	;; [unrolled: 1-line block ×6, first 2 shown]
.LBB0_7:
	s_or_b64 exec, exec, s[0:1]
	v_and_b32_e32 v42, 15, v51
	v_mad_u64_u32 v[8:9], s[0:1], v42, 40, s[10:11]
	s_load_dwordx4 s[4:7], s[4:5], 0x0
	s_waitcnt lgkmcnt(0)
	s_barrier
	global_load_dwordx4 v[4:7], v[8:9], off
	global_load_dwordx4 v[0:3], v[8:9], off offset:16
	global_load_dwordx2 v[52:53], v[8:9], off offset:32
	v_lshrrev_b32_e32 v16, 4, v51
	v_add_u32_e32 v49, 0x400, v48
	ds_read2_b64 v[8:11], v48 offset1:96
	v_add_u32_e32 v56, 0x800, v48
	v_mul_u32_u24_e32 v43, 0x60, v16
	ds_read2_b64 v[16:19], v49 offset0:64 offset1:160
	ds_read2_b64 v[36:39], v56 offset0:128 offset1:224
	v_or_b32_e32 v42, v43, v42
	v_lshlrev_b32_e32 v76, 3, v42
	s_mov_b32 s0, 0x3f5db3d7
	s_mov_b32 s1, 0xbf5db3d7
	v_mad_u64_u32 v[40:41], s[10:11], v51, 40, s[10:11]
	s_waitcnt lgkmcnt(0)
	s_barrier
	s_mov_b32 s10, s1
	s_mov_b32 s11, s0
	s_waitcnt vmcnt(2)
	v_pk_mul_f32 v[42:43], v[10:11], v[4:5] op_sel:[0,1]
	v_mov_b32_e32 v44, v7
	s_waitcnt vmcnt(1)
	v_pk_mul_f32 v[46:47], v[18:19], v[0:1] op_sel:[0,1]
	v_mov_b32_e32 v54, v3
	s_waitcnt vmcnt(0)
	v_pk_mul_f32 v[58:59], v[38:39], v[52:53] op_sel:[0,1]
	v_pk_fma_f32 v[60:61], v[10:11], v[4:5], v[42:43] op_sel:[0,0,1] op_sel_hi:[1,1,0] neg_lo:[0,0,1] neg_hi:[0,0,1]
	v_pk_fma_f32 v[10:11], v[10:11], v[4:5], v[42:43] op_sel:[0,0,1] op_sel_hi:[1,0,0]
	v_pk_mul_f32 v[42:43], v[16:17], v[44:45] op_sel_hi:[1,0]
	v_pk_fma_f32 v[44:45], v[18:19], v[0:1], v[46:47] op_sel:[0,0,1] op_sel_hi:[1,1,0] neg_lo:[0,0,1] neg_hi:[0,0,1]
	v_pk_fma_f32 v[18:19], v[18:19], v[0:1], v[46:47] op_sel:[0,0,1] op_sel_hi:[1,0,0]
	v_pk_mul_f32 v[46:47], v[36:37], v[54:55] op_sel_hi:[1,0]
	v_pk_fma_f32 v[54:55], v[38:39], v[52:53], v[58:59] op_sel:[0,0,1] op_sel_hi:[1,1,0] neg_lo:[0,0,1] neg_hi:[0,0,1]
	v_pk_fma_f32 v[38:39], v[38:39], v[52:53], v[58:59] op_sel:[0,0,1] op_sel_hi:[1,0,0]
	v_mov_b32_e32 v61, v11
	v_pk_fma_f32 v[10:11], v[16:17], v[6:7], v[42:43] op_sel:[0,0,1] op_sel_hi:[1,1,0] neg_lo:[0,0,1] neg_hi:[0,0,1]
	v_pk_fma_f32 v[16:17], v[16:17], v[6:7], v[42:43] op_sel:[0,0,1] op_sel_hi:[1,0,0]
	v_mov_b32_e32 v45, v19
	;; [unrolled: 3-line block ×3, first 2 shown]
	v_mov_b32_e32 v11, v17
	v_mov_b32_e32 v19, v37
	v_pk_add_f32 v[36:37], v[44:45], v[54:55]
	v_pk_add_f32 v[16:17], v[60:61], v[44:45]
	v_pk_add_f32 v[38:39], v[44:45], v[54:55] neg_lo:[0,1] neg_hi:[0,1]
	v_pk_add_f32 v[42:43], v[8:9], v[10:11]
	v_pk_add_f32 v[44:45], v[10:11], v[18:19]
	v_pk_add_f32 v[10:11], v[10:11], v[18:19] neg_lo:[0,1] neg_hi:[0,1]
	v_pk_fma_f32 v[36:37], v[36:37], 0.5, v[60:61] op_sel_hi:[1,0,1] neg_lo:[1,0,0] neg_hi:[1,0,0]
	v_pk_add_f32 v[18:19], v[42:43], v[18:19]
	v_pk_fma_f32 v[8:9], v[44:45], 0.5, v[8:9] op_sel_hi:[1,0,1] neg_lo:[1,0,0] neg_hi:[1,0,0]
	v_pk_mul_f32 v[10:11], v[10:11], s[0:1] op_sel_hi:[1,0]
	v_pk_fma_f32 v[42:43], v[38:39], s[0:1], v[36:37] op_sel:[0,0,1] op_sel_hi:[1,0,0]
	v_pk_fma_f32 v[36:37], v[38:39], s[0:1], v[36:37] op_sel:[0,0,1] op_sel_hi:[1,0,0] neg_lo:[1,0,0] neg_hi:[1,0,0]
	v_pk_add_f32 v[44:45], v[10:11], v[8:9] op_sel:[1,0] op_sel_hi:[0,1]
	v_pk_add_f32 v[8:9], v[8:9], v[10:11] op_sel:[0,1] op_sel_hi:[1,0] neg_lo:[0,1] neg_hi:[0,1]
	v_mov_b32_e32 v10, v42
	v_mov_b32_e32 v11, v37
	v_mul_f32_e32 v47, 0xbf5db3d7, v43
	v_pk_add_f32 v[16:17], v[16:17], v[54:55]
	v_mul_f32_e32 v46, 0x3f5db3d7, v36
	v_fmac_f32_e32 v47, 0.5, v36
	v_pk_mul_f32 v[36:37], v[10:11], 0.5 op_sel_hi:[1,0]
	v_pk_add_f32 v[38:39], v[18:19], v[16:17]
	v_pk_add_f32 v[16:17], v[18:19], v[16:17] neg_lo:[0,1] neg_hi:[0,1]
	v_mov_b32_e32 v18, v8
	v_mov_b32_e32 v19, v45
	v_fmac_f32_e32 v46, 0.5, v43
	v_pk_fma_f32 v[10:11], v[10:11], s[0:1], v[36:37] op_sel:[0,0,1] op_sel_hi:[1,1,0] neg_lo:[0,0,1] neg_hi:[0,0,1]
	v_add_f32_e32 v42, v44, v46
	v_add_f32_e32 v43, v9, v47
	v_sub_f32_e32 v8, v44, v46
	v_sub_f32_e32 v9, v9, v47
	v_pk_add_f32 v[36:37], v[18:19], v[10:11]
	v_pk_add_f32 v[10:11], v[18:19], v[10:11] neg_lo:[0,1] neg_hi:[0,1]
	ds_write2_b64 v76, v[38:39], v[42:43] offset1:16
	ds_write2_b64 v76, v[36:37], v[16:17] offset0:32 offset1:48
	ds_write2_b64 v76, v[8:9], v[10:11] offset0:64 offset1:80
	s_waitcnt lgkmcnt(0)
	s_barrier
	global_load_dwordx4 v[16:19], v[40:41], off offset:640
	global_load_dwordx4 v[8:11], v[40:41], off offset:656
	global_load_dwordx2 v[54:55], v[40:41], off offset:672
	ds_read2_b64 v[36:39], v48 offset1:96
	ds_read2_b64 v[40:43], v49 offset0:64 offset1:160
	ds_read2_b64 v[44:47], v56 offset0:128 offset1:224
	s_waitcnt vmcnt(2)
	v_mov_b32_e32 v58, v19
	s_waitcnt vmcnt(1)
	v_mov_b32_e32 v60, v11
	s_waitcnt lgkmcnt(2)
	v_pk_mul_f32 v[62:63], v[38:39], v[16:17] op_sel:[0,1]
	s_waitcnt lgkmcnt(1)
	v_pk_mul_f32 v[64:65], v[42:43], v[8:9] op_sel:[0,1]
	s_waitcnt vmcnt(0) lgkmcnt(0)
	v_pk_mul_f32 v[66:67], v[46:47], v[54:55] op_sel:[0,1]
	v_pk_mul_f32 v[58:59], v[40:41], v[58:59] op_sel_hi:[1,0]
	v_pk_mul_f32 v[60:61], v[44:45], v[60:61] op_sel_hi:[1,0]
	v_pk_fma_f32 v[68:69], v[38:39], v[16:17], v[62:63] op_sel:[0,0,1] op_sel_hi:[1,1,0] neg_lo:[0,0,1] neg_hi:[0,0,1]
	v_pk_fma_f32 v[38:39], v[38:39], v[16:17], v[62:63] op_sel:[0,0,1] op_sel_hi:[1,0,0]
	v_pk_fma_f32 v[62:63], v[42:43], v[8:9], v[64:65] op_sel:[0,0,1] op_sel_hi:[1,1,0] neg_lo:[0,0,1] neg_hi:[0,0,1]
	v_pk_fma_f32 v[42:43], v[42:43], v[8:9], v[64:65] op_sel:[0,0,1] op_sel_hi:[1,0,0]
	;; [unrolled: 2-line block ×5, first 2 shown]
	v_mov_b32_e32 v63, v43
	v_mov_b32_e32 v65, v47
	;; [unrolled: 1-line block ×5, first 2 shown]
	v_pk_add_f32 v[38:39], v[62:63], v[64:65]
	v_pk_add_f32 v[40:41], v[62:63], v[64:65] neg_lo:[0,1] neg_hi:[0,1]
	v_pk_add_f32 v[44:45], v[66:67], v[58:59]
	v_pk_add_f32 v[46:47], v[66:67], v[58:59] neg_lo:[0,1] neg_hi:[0,1]
	v_pk_add_f32 v[60:61], v[36:37], v[66:67]
	v_pk_fma_f32 v[38:39], v[38:39], 0.5, v[68:69] op_sel_hi:[1,0,1] neg_lo:[1,0,0] neg_hi:[1,0,0]
	v_pk_mul_f32 v[40:41], v[40:41], s[0:1] op_sel_hi:[1,0]
	v_pk_fma_f32 v[36:37], v[44:45], 0.5, v[36:37] op_sel_hi:[1,0,1] neg_lo:[1,0,0] neg_hi:[1,0,0]
	v_pk_mul_f32 v[44:45], v[46:47], s[0:1] op_sel_hi:[1,0]
	v_pk_add_f32 v[42:43], v[68:69], v[62:63]
	v_pk_add_f32 v[46:47], v[40:41], v[38:39] op_sel:[1,0] op_sel_hi:[0,1]
	v_pk_add_f32 v[38:39], v[38:39], v[40:41] op_sel:[0,1] op_sel_hi:[1,0] neg_lo:[0,1] neg_hi:[0,1]
	v_pk_add_f32 v[40:41], v[60:61], v[58:59]
	v_pk_add_f32 v[58:59], v[44:45], v[36:37] op_sel:[1,0] op_sel_hi:[0,1]
	v_pk_add_f32 v[44:45], v[36:37], v[44:45] op_sel:[0,1] op_sel_hi:[1,0] neg_lo:[0,1] neg_hi:[0,1]
	v_pk_add_f32 v[42:43], v[42:43], v[64:65]
	v_mov_b32_e32 v60, v38
	v_mov_b32_e32 v61, v47
	;; [unrolled: 1-line block ×4, first 2 shown]
	v_mul_f32_e32 v44, 0x3f5db3d7, v39
	v_mul_f32_e32 v59, 0xbf5db3d7, v46
	v_pk_add_f32 v[36:37], v[40:41], v[42:43]
	v_pk_add_f32 v[42:43], v[40:41], v[42:43] neg_lo:[0,1] neg_hi:[0,1]
	v_pk_mul_f32 v[40:41], v[60:61], s[10:11]
	v_fmac_f32_e32 v44, 0.5, v46
	v_fmac_f32_e32 v59, 0.5, v39
	v_mov_b32_e32 v64, v58
	v_mov_b32_e32 v65, v45
	v_pk_fma_f32 v[46:47], v[60:61], 0.5, v[40:41] op_sel:[0,0,1] op_sel_hi:[1,0,0] neg_lo:[1,0,0] neg_hi:[1,0,0]
	v_pk_add_f32 v[38:39], v[58:59], v[44:45]
	v_mov_b32_e32 v45, v59
	v_pk_add_f32 v[40:41], v[62:63], v[46:47]
	v_pk_add_f32 v[46:47], v[62:63], v[46:47] neg_lo:[0,1] neg_hi:[0,1]
	v_pk_add_f32 v[44:45], v[64:65], v[44:45] neg_lo:[0,1] neg_hi:[0,1]
	ds_write2_b64 v48, v[36:37], v[38:39] offset1:96
	ds_write2_b64 v49, v[40:41], v[42:43] offset0:64 offset1:160
	ds_write2_b64 v56, v[44:45], v[46:47] offset0:128 offset1:224
	s_waitcnt lgkmcnt(0)
	s_barrier
	s_and_saveexec_b64 s[0:1], s[2:3]
	s_cbranch_execz .LBB0_9
; %bb.8:
	v_mov_b32_e32 v49, 0
	v_lshl_add_u64 v[58:59], s[8:9], 0, v[48:49]
	s_mov_b64 s[10:11], 0x1200
	v_lshl_add_u64 v[60:61], v[58:59], 0, s[10:11]
	global_load_dwordx2 v[64:65], v[60:61], off offset:288
	v_add_co_u32_e32 v62, vcc, 0x1000, v58
	s_nop 1
	v_addc_co_u32_e32 v63, vcc, 0, v59, vcc
	global_load_dwordx2 v[66:67], v[62:63], off offset:512
	global_load_dwordx2 v[70:71], v[60:61], off offset:576
	;; [unrolled: 1-line block ×13, first 2 shown]
	v_add_co_u32_e32 v58, vcc, 0x2000, v58
	global_load_dwordx2 v[96:97], v[60:61], off offset:4032
	s_nop 0
	v_addc_co_u32_e32 v59, vcc, 0, v59, vcc
	global_load_dwordx2 v[98:99], v[58:59], off offset:736
	ds_read2_b64 v[58:61], v48 offset1:36
	s_waitcnt vmcnt(15) lgkmcnt(0)
	v_mul_f32_e32 v49, v61, v65
	v_mul_f32_e32 v63, v60, v65
	v_fma_f32 v62, v60, v64, -v49
	v_fmac_f32_e32 v63, v61, v64
	s_waitcnt vmcnt(14)
	v_mul_f32_e32 v49, v59, v67
	v_mul_f32_e32 v61, v58, v67
	v_fma_f32 v60, v58, v66, -v49
	v_fmac_f32_e32 v61, v59, v66
	ds_write2_b64 v48, v[60:61], v[62:63] offset1:36
	ds_read2_b64 v[58:61], v48 offset0:72 offset1:108
	ds_read2_b64 v[62:65], v48 offset0:144 offset1:180
	;; [unrolled: 1-line block ×3, first 2 shown]
	s_waitcnt vmcnt(13) lgkmcnt(2)
	v_mul_f32_e32 v49, v59, v71
	v_mul_f32_e32 v101, v58, v71
	s_waitcnt vmcnt(12)
	v_mul_f32_e32 v57, v61, v73
	v_mul_f32_e32 v71, v60, v73
	s_waitcnt vmcnt(11) lgkmcnt(1)
	v_mul_f32_e32 v102, v63, v75
	v_mul_f32_e32 v73, v62, v75
	s_waitcnt vmcnt(10)
	v_mul_f32_e32 v103, v65, v79
	v_mul_f32_e32 v75, v64, v79
	;; [unrolled: 6-line block ×3, first 2 shown]
	v_fma_f32 v100, v58, v70, -v49
	v_fmac_f32_e32 v101, v59, v70
	v_fma_f32 v70, v60, v72, -v57
	v_fmac_f32_e32 v71, v61, v72
	;; [unrolled: 2-line block ×6, first 2 shown]
	ds_write2_b64 v48, v[100:101], v[70:71] offset0:72 offset1:108
	ds_write2_b64 v48, v[72:73], v[74:75] offset0:144 offset1:180
	;; [unrolled: 1-line block ×3, first 2 shown]
	ds_read2_b64 v[58:61], v56 offset0:32 offset1:68
	s_waitcnt vmcnt(7) lgkmcnt(0)
	v_mul_f32_e32 v49, v59, v85
	v_mul_f32_e32 v63, v58, v85
	s_waitcnt vmcnt(6)
	v_mul_f32_e32 v57, v61, v87
	v_mul_f32_e32 v65, v60, v87
	v_fma_f32 v62, v58, v84, -v49
	v_fmac_f32_e32 v63, v59, v84
	v_fma_f32 v64, v60, v86, -v57
	v_fmac_f32_e32 v65, v61, v86
	ds_write2_b64 v56, v[62:63], v[64:65] offset0:32 offset1:68
	ds_read2_b64 v[58:61], v56 offset0:104 offset1:140
	v_add_u32_e32 v49, 0xc00, v48
	ds_read2_b64 v[62:65], v56 offset0:176 offset1:212
	ds_read2_b64 v[66:69], v49 offset0:120 offset1:156
	s_waitcnt vmcnt(5) lgkmcnt(2)
	v_mul_f32_e32 v57, v59, v89
	v_mul_f32_e32 v71, v58, v89
	s_waitcnt vmcnt(4)
	v_mul_f32_e32 v72, v61, v91
	v_mul_f32_e32 v73, v60, v91
	s_waitcnt vmcnt(3) lgkmcnt(1)
	v_mul_f32_e32 v74, v63, v93
	v_mul_f32_e32 v75, v62, v93
	s_waitcnt vmcnt(2)
	v_mul_f32_e32 v78, v65, v95
	v_mul_f32_e32 v79, v64, v95
	;; [unrolled: 6-line block ×3, first 2 shown]
	v_fma_f32 v70, v58, v88, -v57
	v_fmac_f32_e32 v71, v59, v88
	v_fma_f32 v72, v60, v90, -v72
	v_fmac_f32_e32 v73, v61, v90
	;; [unrolled: 2-line block ×6, first 2 shown]
	ds_write2_b64 v56, v[70:71], v[72:73] offset0:104 offset1:140
	ds_write2_b64 v56, v[74:75], v[78:79] offset0:176 offset1:212
	;; [unrolled: 1-line block ×3, first 2 shown]
.LBB0_9:
	s_or_b64 exec, exec, s[0:1]
	s_waitcnt lgkmcnt(0)
	s_barrier
	s_and_saveexec_b64 s[0:1], s[2:3]
	s_cbranch_execz .LBB0_11
; %bb.10:
	ds_read2_b64 v[36:39], v48 offset1:36
	ds_read2_b64 v[40:43], v48 offset0:72 offset1:108
	ds_read2_b64 v[44:47], v48 offset0:144 offset1:180
	;; [unrolled: 1-line block ×3, first 2 shown]
	v_add_u32_e32 v24, 0x800, v48
	ds_read2_b64 v[12:15], v24 offset0:32 offset1:68
	ds_read2_b64 v[20:23], v24 offset0:104 offset1:140
	;; [unrolled: 1-line block ×3, first 2 shown]
	v_add_u32_e32 v32, 0xc00, v48
	ds_read2_b64 v[32:35], v32 offset0:120 offset1:156
.LBB0_11:
	s_or_b64 exec, exec, s[0:1]
	v_mov_b32_e32 v74, v4
	v_mov_b32_e32 v75, v4
	;; [unrolled: 1-line block ×30, first 2 shown]
	s_waitcnt lgkmcnt(0)
	s_barrier
	s_and_saveexec_b64 s[0:1], s[2:3]
	s_cbranch_execz .LBB0_13
; %bb.12:
	v_pk_add_f32 v[78:79], v[40:41], v[20:21] neg_lo:[0,1] neg_hi:[0,1]
	v_pk_add_f32 v[32:33], v[28:29], v[32:33] neg_lo:[0,1] neg_hi:[0,1]
	;; [unrolled: 1-line block ×4, first 2 shown]
	v_pk_fma_f32 v[12:13], v[40:41], 2.0, v[78:79] op_sel_hi:[1,0,1] neg_lo:[0,0,1] neg_hi:[0,0,1]
	v_pk_fma_f32 v[20:21], v[28:29], 2.0, v[32:33] op_sel_hi:[1,0,1] neg_lo:[0,0,1] neg_hi:[0,0,1]
	v_pk_add_f32 v[22:23], v[42:43], v[22:23] neg_lo:[0,1] neg_hi:[0,1]
	v_pk_add_f32 v[34:35], v[30:31], v[34:35] neg_lo:[0,1] neg_hi:[0,1]
	;; [unrolled: 1-line block ×5, first 2 shown]
	v_pk_fma_f32 v[20:21], v[36:37], 2.0, v[80:81] op_sel_hi:[1,0,1] neg_lo:[0,0,1] neg_hi:[0,0,1]
	v_pk_fma_f32 v[28:29], v[44:45], 2.0, v[24:25] op_sel_hi:[1,0,1] neg_lo:[0,0,1] neg_hi:[0,0,1]
	;; [unrolled: 1-line block ×3, first 2 shown]
	v_pk_add_f32 v[36:37], v[20:21], v[28:29] neg_lo:[0,1] neg_hi:[0,1]
	v_pk_fma_f32 v[28:29], v[42:43], 2.0, v[22:23] op_sel_hi:[1,0,1] neg_lo:[0,0,1] neg_hi:[0,0,1]
	v_pk_fma_f32 v[38:39], v[38:39], 2.0, v[14:15] op_sel_hi:[1,0,1] neg_lo:[0,0,1] neg_hi:[0,0,1]
	;; [unrolled: 1-line block ×3, first 2 shown]
	v_pk_add_f32 v[30:31], v[28:29], v[30:31] neg_lo:[0,1] neg_hi:[0,1]
	v_pk_add_f32 v[42:43], v[38:39], v[42:43] neg_lo:[0,1] neg_hi:[0,1]
	v_pk_fma_f32 v[20:21], v[20:21], 2.0, v[36:37] op_sel_hi:[1,0,1] neg_lo:[0,0,1] neg_hi:[0,0,1]
	v_pk_fma_f32 v[12:13], v[12:13], 2.0, v[40:41] op_sel_hi:[1,0,1] neg_lo:[0,0,1] neg_hi:[0,0,1]
	;; [unrolled: 1-line block ×3, first 2 shown]
	v_pk_add_f32 v[44:45], v[20:21], v[12:13] neg_lo:[0,1] neg_hi:[0,1]
	v_pk_fma_f32 v[12:13], v[38:39], 2.0, v[42:43] op_sel_hi:[1,0,1] neg_lo:[0,0,1] neg_hi:[0,0,1]
	v_pk_add_f32 v[82:83], v[80:81], v[24:25] op_sel:[0,1] op_sel_hi:[1,0]
	v_pk_add_f32 v[24:25], v[80:81], v[24:25] op_sel:[0,1] op_sel_hi:[1,0] neg_lo:[0,1] neg_hi:[0,1]
	v_pk_add_f32 v[38:39], v[12:13], v[28:29] neg_lo:[0,1] neg_hi:[0,1]
	v_pk_add_f32 v[46:47], v[78:79], v[32:33] op_sel:[0,1] op_sel_hi:[1,0]
	v_pk_add_f32 v[28:29], v[78:79], v[32:33] op_sel:[0,1] op_sel_hi:[1,0] neg_lo:[0,1] neg_hi:[0,1]
	v_mov_b32_e32 v83, v25
	v_pk_add_f32 v[84:85], v[22:23], v[34:35] op_sel:[0,1] op_sel_hi:[1,0]
	v_pk_add_f32 v[24:25], v[22:23], v[34:35] op_sel:[0,1] op_sel_hi:[1,0] neg_lo:[0,1] neg_hi:[0,1]
	v_mov_b32_e32 v47, v29
	v_mov_b32_e32 v85, v25
	v_pk_add_f32 v[34:35], v[14:15], v[26:27] op_sel:[0,1] op_sel_hi:[1,0]
	v_pk_add_f32 v[24:25], v[14:15], v[26:27] op_sel:[0,1] op_sel_hi:[1,0] neg_lo:[0,1] neg_hi:[0,1]
	s_mov_b32 s10, 0x3f3504f3
	v_mov_b32_e32 v35, v25
	v_pk_fma_f32 v[24:25], v[78:79], 2.0, v[46:47] op_sel_hi:[1,0,1] neg_lo:[0,0,1] neg_hi:[0,0,1]
	v_pk_fma_f32 v[78:79], v[80:81], 2.0, v[82:83] op_sel_hi:[1,0,1] neg_lo:[0,0,1] neg_hi:[0,0,1]
	v_pk_mul_f32 v[26:27], v[24:25], s[10:11] op_sel_hi:[1,0]
	v_pk_fma_f32 v[24:25], v[24:25], s[10:11], v[78:79] op_sel_hi:[1,0,1] neg_lo:[1,0,0] neg_hi:[1,0,0]
	v_pk_fma_f32 v[22:23], v[22:23], 2.0, v[84:85] op_sel_hi:[1,0,1] neg_lo:[0,0,1] neg_hi:[0,0,1]
	v_pk_fma_f32 v[14:15], v[14:15], 2.0, v[34:35] op_sel_hi:[1,0,1] neg_lo:[0,0,1] neg_hi:[0,0,1]
	v_pk_add_f32 v[80:81], v[24:25], v[26:27] op_sel:[0,1] op_sel_hi:[1,0]
	v_pk_add_f32 v[28:29], v[24:25], v[26:27] op_sel:[0,1] op_sel_hi:[1,0] neg_lo:[0,1] neg_hi:[0,1]
	v_pk_mul_f32 v[24:25], v[22:23], s[10:11] op_sel_hi:[1,0]
	v_pk_fma_f32 v[22:23], v[22:23], s[10:11], v[14:15] op_sel_hi:[1,0,1] neg_lo:[1,0,0] neg_hi:[1,0,0]
	v_mov_b32_e32 v81, v29
	v_pk_add_f32 v[86:87], v[22:23], v[24:25] op_sel:[0,1] op_sel_hi:[1,0]
	v_pk_add_f32 v[32:33], v[22:23], v[24:25] op_sel:[0,1] op_sel_hi:[1,0] neg_lo:[0,1] neg_hi:[0,1]
	s_mov_b32 s16, 0x3ec3ef15
	v_mov_b32_e32 v87, v33
	s_mov_b32 s14, 0x3f6c835e
	v_pk_fma_f32 v[14:15], v[14:15], 2.0, v[86:87] op_sel_hi:[1,0,1] neg_lo:[0,0,1] neg_hi:[0,0,1]
	v_pk_fma_f32 v[22:23], v[78:79], 2.0, v[80:81] op_sel_hi:[1,0,1] neg_lo:[0,0,1] neg_hi:[0,0,1]
	v_fmamk_f32 v28, v86, 0x3ec3ef15, v80
	v_pk_mul_f32 v[24:25], v[14:15], s[16:17] op_sel_hi:[1,0]
	v_pk_fma_f32 v[26:27], v[14:15], s[14:15], v[22:23] op_sel_hi:[1,0,1] neg_lo:[1,0,0] neg_hi:[1,0,0]
	v_pk_fma_f32 v[20:21], v[20:21], 2.0, v[44:45] op_sel_hi:[1,0,1] neg_lo:[0,0,1] neg_hi:[0,0,1]
	v_pk_fma_f32 v[12:13], v[12:13], 2.0, v[38:39] op_sel_hi:[1,0,1] neg_lo:[0,0,1] neg_hi:[0,0,1]
	v_fmac_f32_e32 v28, 0x3f6c835e, v33
	v_pk_add_f32 v[14:15], v[26:27], v[24:25] op_sel:[0,1] op_sel_hi:[1,0]
	v_pk_add_f32 v[78:79], v[26:27], v[24:25] op_sel:[0,1] op_sel_hi:[1,0] neg_lo:[0,1] neg_hi:[0,1]
	v_pk_add_f32 v[12:13], v[20:21], v[12:13] neg_lo:[0,1] neg_hi:[0,1]
	v_fma_f32 v32, v80, 2.0, -v28
	v_mov_b32_e32 v15, v79
	v_pk_add_f32 v[80:81], v[36:37], v[40:41] op_sel:[0,1] op_sel_hi:[1,0]
	v_pk_add_f32 v[40:41], v[36:37], v[40:41] op_sel:[0,1] op_sel_hi:[1,0] neg_lo:[0,1] neg_hi:[0,1]
	v_pk_add_f32 v[88:89], v[42:43], v[30:31] op_sel:[0,1] op_sel_hi:[1,0]
	v_pk_add_f32 v[90:91], v[42:43], v[30:31] op_sel:[0,1] op_sel_hi:[1,0] neg_lo:[0,1] neg_hi:[0,1]
	v_lshlrev_b32_e32 v49, 3, v77
	v_pk_fma_f32 v[20:21], v[20:21], 2.0, v[12:13] op_sel_hi:[1,0,1] neg_lo:[0,0,1] neg_hi:[0,0,1]
	v_pk_fma_f32 v[22:23], v[22:23], 2.0, v[14:15] op_sel_hi:[1,0,1] neg_lo:[0,0,1] neg_hi:[0,0,1]
	v_mov_b32_e32 v81, v41
	v_mov_b32_e32 v89, v91
	ds_write_b128 v49, v[20:23]
	v_pk_fma_f32 v[20:21], v[42:43], 2.0, v[88:89] op_sel_hi:[1,0,1] neg_lo:[0,0,1] neg_hi:[0,0,1]
	v_pk_fma_f32 v[24:25], v[36:37], 2.0, v[80:81] op_sel_hi:[1,0,1] neg_lo:[0,0,1] neg_hi:[0,0,1]
	v_pk_mul_f32 v[22:23], v[20:21], s[10:11] op_sel_hi:[1,0]
	v_pk_fma_f32 v[26:27], v[20:21], s[10:11], v[24:25] op_sel_hi:[1,0,1] neg_lo:[1,0,0] neg_hi:[1,0,0]
	v_pk_fma_f32 v[30:31], v[84:85], s[10:11], v[34:35] op_sel_hi:[1,0,1]
	v_pk_add_f32 v[20:21], v[26:27], v[22:23] op_sel:[0,1] op_sel_hi:[1,0]
	v_pk_add_f32 v[36:37], v[26:27], v[22:23] op_sel:[0,1] op_sel_hi:[1,0] neg_lo:[0,1] neg_hi:[0,1]
	v_pk_mul_f32 v[22:23], v[46:47], s[10:11] op_sel_hi:[1,0]
	v_pk_fma_f32 v[26:27], v[46:47], s[10:11], v[82:83] op_sel_hi:[1,0,1]
	v_mov_b32_e32 v21, v37
	v_pk_add_f32 v[42:43], v[26:27], v[22:23] op_sel:[0,1] op_sel_hi:[1,0]
	v_pk_add_f32 v[22:23], v[26:27], v[22:23] op_sel:[0,1] op_sel_hi:[1,0] neg_lo:[0,1] neg_hi:[0,1]
	v_pk_mul_f32 v[26:27], v[84:85], s[10:11] op_sel_hi:[1,0]
	v_mov_b32_e32 v43, v23
	v_pk_add_f32 v[46:47], v[30:31], v[26:27] op_sel:[0,1] op_sel_hi:[1,0]
	v_pk_add_f32 v[26:27], v[30:31], v[26:27] op_sel:[0,1] op_sel_hi:[1,0] neg_lo:[0,1] neg_hi:[0,1]
	v_fmamk_f32 v85, v46, 0x3f6c835e, v42
	v_fmamk_f32 v15, v27, 0x3f6c835e, v23
	v_mov_b32_e32 v47, v27
	v_fmamk_f32 v36, v46, 0xbec3ef15, v15
	v_fma_f32 v40, v23, 2.0, -v36
	v_fmac_f32_e32 v85, 0x3ec3ef15, v27
	v_pk_fma_f32 v[22:23], v[34:35], 2.0, v[46:47] op_sel_hi:[1,0,1] neg_lo:[0,0,1] neg_hi:[0,0,1]
	v_pk_fma_f32 v[26:27], v[82:83], 2.0, v[42:43] op_sel_hi:[1,0,1] neg_lo:[0,0,1] neg_hi:[0,0,1]
	v_pk_mul_f32 v[30:31], v[22:23], s[14:15] op_sel_hi:[1,0]
	v_pk_fma_f32 v[34:35], v[22:23], s[16:17], v[26:27] op_sel_hi:[1,0,1] neg_lo:[1,0,0] neg_hi:[1,0,0]
	v_pk_fma_f32 v[24:25], v[24:25], 2.0, v[20:21] op_sel_hi:[1,0,1] neg_lo:[0,0,1] neg_hi:[0,0,1]
	v_pk_add_f32 v[22:23], v[34:35], v[30:31] op_sel:[0,1] op_sel_hi:[1,0]
	v_pk_add_f32 v[34:35], v[34:35], v[30:31] op_sel:[0,1] op_sel_hi:[1,0] neg_lo:[0,1] neg_hi:[0,1]
	s_mov_b32 s17, s10
	v_mov_b32_e32 v23, v35
	v_pk_fma_f32 v[26:27], v[26:27], 2.0, v[22:23] op_sel_hi:[1,0,1] neg_lo:[0,0,1] neg_hi:[0,0,1]
	ds_write_b128 v49, v[24:27] offset:16
	v_pk_add_f32 v[26:27], v[44:45], v[38:39] op_sel:[0,1] op_sel_hi:[1,0]
	v_pk_add_f32 v[24:25], v[44:45], v[38:39] op_sel:[0,1] op_sel_hi:[1,0] neg_lo:[0,1] neg_hi:[0,1]
	v_mov_b32_e32 v87, v91
	v_mov_b32_e32 v27, v25
	v_pk_fma_f32 v[30:31], v[44:45], 2.0, v[26:27] op_sel_hi:[1,0,1] neg_lo:[0,0,1] neg_hi:[0,0,1]
	ds_write_b96 v49, v[30:32] offset:32
	v_mov_b32_e32 v30, v33
	v_mov_b32_e32 v31, v88
	;; [unrolled: 1-line block ×4, first 2 shown]
	s_mov_b32 s15, s10
	v_pk_fma_f32 v[30:31], v[30:31], s[16:17], v[32:33]
	v_fmamk_f32 v15, v91, 0x3f3504f3, v41
	v_pk_fma_f32 v[38:39], v[86:87], s[14:15], v[30:31] neg_lo:[1,0,0] neg_hi:[1,0,0]
	v_pk_fma_f32 v[30:31], v[86:87], s[14:15], v[30:31]
	v_fmamk_f32 v84, v88, 0xbf3504f3, v15
	v_mov_b32_e32 v39, v31
	v_pk_fma_f32 v[30:31], v[32:33], 2.0, v[38:39] op_sel_hi:[1,0,1] neg_lo:[0,0,1] neg_hi:[0,0,1]
	ds_write2_b32 v49, v30, v31 offset0:11 offset1:12
	v_mov_b32_e32 v30, v41
	v_mov_b32_e32 v31, v42
	v_pk_fma_f32 v[30:31], v[30:31], 2.0, v[84:85] op_sel_hi:[1,0,1] neg_lo:[0,0,1] neg_hi:[0,0,1]
	v_mov_b32_e32 v15, v79
	ds_write2_b32 v49, v30, v31 offset0:13 offset1:14
	ds_write_b128 v49, v[12:15] offset:64
	ds_write_b128 v49, v[20:23] offset:80
	ds_write_b96 v49, v[26:28] offset:96
	ds_write2_b32 v49, v38, v39 offset0:27 offset1:28
	ds_write2_b32 v49, v84, v85 offset0:29 offset1:30
	;; [unrolled: 1-line block ×3, first 2 shown]
.LBB0_13:
	s_or_b64 exec, exec, s[0:1]
	v_add_u32_e32 v13, 0x400, v48
	s_waitcnt lgkmcnt(0)
	s_barrier
	ds_read2_b64 v[20:23], v48 offset1:96
	ds_read2_b64 v[24:27], v13 offset0:64 offset1:160
	v_add_u32_e32 v12, 0x800, v48
	ds_read2_b64 v[28:31], v12 offset0:128 offset1:224
	s_mov_b32 s10, 0x3f5db3d7
	s_waitcnt lgkmcnt(2)
	v_pk_mul_f32 v[4:5], v[4:5], v[22:23]
	s_waitcnt lgkmcnt(1)
	v_pk_mul_f32 v[6:7], v[6:7], v[24:25]
	v_pk_fma_f32 v[14:15], v[74:75], v[22:23], v[4:5] op_sel:[0,0,1] op_sel_hi:[1,1,0]
	v_pk_fma_f32 v[4:5], v[74:75], v[22:23], v[4:5] op_sel:[0,0,1] op_sel_hi:[1,1,0] neg_lo:[0,0,1] neg_hi:[0,0,1]
	v_pk_fma_f32 v[22:23], v[72:73], v[24:25], v[6:7] op_sel:[0,0,1] op_sel_hi:[1,1,0]
	v_pk_fma_f32 v[6:7], v[72:73], v[24:25], v[6:7] op_sel:[0,0,1] op_sel_hi:[1,1,0] neg_lo:[0,0,1] neg_hi:[0,0,1]
	v_pk_mul_f32 v[0:1], v[0:1], v[26:27]
	v_mov_b32_e32 v23, v7
	v_pk_fma_f32 v[6:7], v[70:71], v[26:27], v[0:1] op_sel:[0,0,1] op_sel_hi:[1,1,0]
	v_pk_fma_f32 v[0:1], v[70:71], v[26:27], v[0:1] op_sel:[0,0,1] op_sel_hi:[1,1,0] neg_lo:[0,0,1] neg_hi:[0,0,1]
	v_mov_b32_e32 v4, v14
	v_mov_b32_e32 v7, v1
	s_waitcnt lgkmcnt(0)
	v_pk_mul_f32 v[0:1], v[2:3], v[28:29]
	v_mov_b32_e32 v15, v5
	v_pk_fma_f32 v[2:3], v[68:69], v[28:29], v[0:1] op_sel:[0,0,1] op_sel_hi:[1,1,0]
	v_pk_fma_f32 v[0:1], v[68:69], v[28:29], v[0:1] op_sel:[0,0,1] op_sel_hi:[1,1,0] neg_lo:[0,0,1] neg_hi:[0,0,1]
	s_mov_b32 s14, 0.5
	v_mov_b32_e32 v3, v1
	v_pk_mul_f32 v[0:1], v[52:53], v[30:31]
	s_mov_b32 s15, s10
	v_pk_fma_f32 v[24:25], v[66:67], v[30:31], v[0:1] op_sel:[0,0,1] op_sel_hi:[1,1,0]
	v_pk_fma_f32 v[0:1], v[66:67], v[30:31], v[0:1] op_sel:[0,0,1] op_sel_hi:[1,1,0] neg_lo:[0,0,1] neg_hi:[0,0,1]
	s_nop 0
	v_mov_b32_e32 v25, v1
	v_pk_add_f32 v[26:27], v[6:7], v[24:25]
	v_pk_add_f32 v[0:1], v[20:21], v[22:23]
	v_fmac_f32_e32 v4, -0.5, v26
	v_pk_add_f32 v[28:29], v[6:7], v[24:25] neg_lo:[0,1] neg_hi:[0,1]
	v_fmac_f32_e32 v5, -0.5, v27
	v_pk_add_f32 v[0:1], v[0:1], v[2:3]
	v_fmamk_f32 v26, v29, 0xbf5db3d7, v4
	v_fmac_f32_e32 v4, 0x3f5db3d7, v29
	v_pk_add_f32 v[6:7], v[14:15], v[6:7]
	v_fmamk_f32 v14, v28, 0x3f5db3d7, v5
	v_fmac_f32_e32 v5, 0xbf5db3d7, v28
	v_pk_add_f32 v[28:29], v[22:23], v[2:3]
	v_pk_add_f32 v[2:3], v[22:23], v[2:3] neg_lo:[0,1] neg_hi:[0,1]
	v_pk_fma_f32 v[20:21], v[28:29], 0.5, v[20:21] op_sel_hi:[1,0,1] neg_lo:[1,0,0] neg_hi:[1,0,0]
	v_pk_mul_f32 v[2:3], v[2:3], s[10:11] op_sel_hi:[1,0]
	s_mov_b32 s11, s14
	v_pk_mul_f32 v[14:15], v[14:15], s[10:11] op_sel_hi:[0,1]
	v_pk_add_f32 v[22:23], v[20:21], v[2:3] op_sel:[0,1] op_sel_hi:[1,0] neg_lo:[0,1] neg_hi:[0,1]
	v_pk_add_f32 v[2:3], v[20:21], v[2:3] op_sel:[0,1] op_sel_hi:[1,0]
	v_pk_fma_f32 v[28:29], v[26:27], s[14:15], v[14:15] neg_lo:[0,0,1] neg_hi:[0,0,1]
	v_pk_fma_f32 v[14:15], v[26:27], s[14:15], v[14:15] op_sel_hi:[0,1,1]
	v_pk_add_f32 v[6:7], v[6:7], v[24:25]
	v_mov_b32_e32 v20, v22
	v_mov_b32_e32 v21, v3
	;; [unrolled: 1-line block ×3, first 2 shown]
	v_pk_add_f32 v[24:25], v[0:1], v[6:7]
	v_pk_add_f32 v[14:15], v[20:21], v[28:29]
	s_barrier
	ds_write2_b64 v76, v[24:25], v[14:15] offset1:16
	v_mov_b32_e32 v14, v5
	s_mov_b32 s0, -0.5
	s_mov_b32 s1, s10
	v_pk_mul_f32 v[14:15], v[14:15], s[10:11] op_sel_hi:[0,1]
	v_pk_fma_f32 v[4:5], v[4:5], s[0:1], v[14:15] op_sel_hi:[0,1,1] neg_lo:[0,0,1] neg_hi:[0,0,1]
	v_mov_b32_e32 v3, v23
	v_pk_add_f32 v[14:15], v[2:3], v[4:5]
	v_pk_add_f32 v[0:1], v[0:1], v[6:7] neg_lo:[0,1] neg_hi:[0,1]
	ds_write2_b64 v76, v[14:15], v[0:1] offset0:32 offset1:48
	v_pk_add_f32 v[0:1], v[20:21], v[28:29] neg_lo:[0,1] neg_hi:[0,1]
	v_pk_add_f32 v[2:3], v[2:3], v[4:5] neg_lo:[0,1] neg_hi:[0,1]
	ds_write2_b64 v76, v[0:1], v[2:3] offset0:64 offset1:80
	s_waitcnt lgkmcnt(0)
	s_barrier
	ds_read2_b64 v[0:3], v48 offset1:96
	ds_read2_b64 v[4:7], v13 offset0:64 offset1:160
	ds_read2_b64 v[20:23], v12 offset0:128 offset1:224
	s_waitcnt lgkmcnt(2)
	v_pk_mul_f32 v[14:15], v[16:17], v[2:3]
	s_nop 0
	v_pk_fma_f32 v[16:17], v[64:65], v[2:3], v[14:15] op_sel:[0,0,1] op_sel_hi:[1,1,0]
	v_pk_fma_f32 v[2:3], v[64:65], v[2:3], v[14:15] op_sel:[0,0,1] op_sel_hi:[1,1,0] neg_lo:[0,0,1] neg_hi:[0,0,1]
	s_waitcnt lgkmcnt(1)
	v_pk_mul_f32 v[14:15], v[18:19], v[4:5]
	v_mov_b32_e32 v17, v3
	v_pk_fma_f32 v[18:19], v[58:59], v[4:5], v[14:15] op_sel:[0,0,1] op_sel_hi:[1,1,0]
	v_pk_fma_f32 v[4:5], v[58:59], v[4:5], v[14:15] op_sel:[0,0,1] op_sel_hi:[1,1,0] neg_lo:[0,0,1] neg_hi:[0,0,1]
	v_mov_b32_e32 v2, v16
	v_mov_b32_e32 v19, v5
	v_pk_mul_f32 v[4:5], v[8:9], v[6:7]
	s_nop 0
	v_pk_fma_f32 v[8:9], v[62:63], v[6:7], v[4:5] op_sel:[0,0,1] op_sel_hi:[1,1,0]
	v_pk_fma_f32 v[4:5], v[62:63], v[6:7], v[4:5] op_sel:[0,0,1] op_sel_hi:[1,1,0] neg_lo:[0,0,1] neg_hi:[0,0,1]
	s_nop 0
	v_mov_b32_e32 v9, v5
	s_waitcnt lgkmcnt(0)
	v_pk_mul_f32 v[4:5], v[10:11], v[20:21]
	s_nop 0
	v_pk_fma_f32 v[6:7], v[56:57], v[20:21], v[4:5] op_sel:[0,0,1] op_sel_hi:[1,1,0]
	v_pk_fma_f32 v[4:5], v[56:57], v[20:21], v[4:5] op_sel:[0,0,1] op_sel_hi:[1,1,0] neg_lo:[0,0,1] neg_hi:[0,0,1]
	s_nop 0
	v_mov_b32_e32 v7, v5
	v_pk_mul_f32 v[4:5], v[54:55], v[22:23]
	s_nop 0
	v_pk_fma_f32 v[10:11], v[60:61], v[22:23], v[4:5] op_sel:[0,0,1] op_sel_hi:[1,1,0]
	v_pk_fma_f32 v[4:5], v[60:61], v[22:23], v[4:5] op_sel:[0,0,1] op_sel_hi:[1,1,0] neg_lo:[0,0,1] neg_hi:[0,0,1]
	s_nop 0
	v_mov_b32_e32 v11, v5
	v_pk_add_f32 v[14:15], v[8:9], v[10:11]
	v_pk_add_f32 v[4:5], v[0:1], v[18:19]
	v_fmac_f32_e32 v2, -0.5, v14
	v_pk_add_f32 v[20:21], v[8:9], v[10:11] neg_lo:[0,1] neg_hi:[0,1]
	v_pk_add_f32 v[8:9], v[16:17], v[8:9]
	v_fmac_f32_e32 v3, -0.5, v15
	v_pk_add_f32 v[4:5], v[4:5], v[6:7]
	v_fmamk_f32 v14, v21, 0xbf5db3d7, v2
	v_fmac_f32_e32 v2, 0x3f5db3d7, v21
	v_pk_add_f32 v[8:9], v[8:9], v[10:11]
	v_fmamk_f32 v10, v20, 0x3f5db3d7, v3
	v_fmac_f32_e32 v3, 0xbf5db3d7, v20
	v_pk_add_f32 v[20:21], v[18:19], v[6:7]
	v_pk_add_f32 v[6:7], v[18:19], v[6:7] neg_lo:[0,1] neg_hi:[0,1]
	v_pk_fma_f32 v[0:1], v[20:21], 0.5, v[0:1] op_sel_hi:[1,0,1] neg_lo:[1,0,0] neg_hi:[1,0,0]
	v_pk_mul_f32 v[6:7], v[6:7], s[10:11] op_sel_hi:[1,0]
	v_pk_mul_f32 v[10:11], v[10:11], s[10:11] op_sel_hi:[0,1]
	v_pk_add_f32 v[18:19], v[0:1], v[6:7] op_sel:[0,1] op_sel_hi:[1,0] neg_lo:[0,1] neg_hi:[0,1]
	v_pk_add_f32 v[0:1], v[0:1], v[6:7] op_sel:[0,1] op_sel_hi:[1,0]
	v_pk_fma_f32 v[20:21], v[14:15], s[14:15], v[10:11] neg_lo:[0,0,1] neg_hi:[0,0,1]
	v_pk_fma_f32 v[10:11], v[14:15], s[14:15], v[10:11] op_sel_hi:[0,1,1]
	v_mov_b32_e32 v6, v18
	v_mov_b32_e32 v7, v1
	;; [unrolled: 1-line block ×3, first 2 shown]
	v_pk_add_f32 v[16:17], v[4:5], v[8:9]
	v_pk_add_f32 v[10:11], v[6:7], v[20:21]
	ds_write2_b64 v48, v[16:17], v[10:11] offset1:96
	v_mov_b32_e32 v10, v3
	v_pk_mul_f32 v[10:11], v[10:11], s[10:11] op_sel_hi:[0,1]
	v_pk_fma_f32 v[2:3], v[2:3], s[0:1], v[10:11] op_sel_hi:[0,1,1] neg_lo:[0,0,1] neg_hi:[0,0,1]
	v_mov_b32_e32 v1, v19
	v_pk_add_f32 v[10:11], v[0:1], v[2:3]
	v_pk_add_f32 v[4:5], v[4:5], v[8:9] neg_lo:[0,1] neg_hi:[0,1]
	ds_write2_b64 v13, v[10:11], v[4:5] offset0:64 offset1:160
	v_pk_add_f32 v[4:5], v[6:7], v[20:21] neg_lo:[0,1] neg_hi:[0,1]
	v_pk_add_f32 v[0:1], v[0:1], v[2:3] neg_lo:[0,1] neg_hi:[0,1]
	ds_write2_b64 v12, v[4:5], v[0:1] offset0:128 offset1:224
	s_waitcnt lgkmcnt(0)
	s_barrier
	s_and_b64 exec, exec, s[2:3]
	s_cbranch_execz .LBB0_15
; %bb.14:
	global_load_dwordx2 v[8:9], v48, s[8:9]
	global_load_dwordx2 v[10:11], v48, s[8:9] offset:288
	global_load_dwordx2 v[14:15], v48, s[8:9] offset:576
	;; [unrolled: 1-line block ×5, first 2 shown]
	ds_read_b64 v[24:25], v48
	ds_read_b64 v[30:31], v48 offset:2304
	ds_read2_b64 v[0:3], v48 offset0:36 offset1:72
	ds_read2_b64 v[4:7], v48 offset0:108 offset1:144
	global_load_dwordx2 v[32:33], v48, s[8:9] offset:1728
	global_load_dwordx2 v[34:35], v48, s[8:9] offset:2016
	;; [unrolled: 1-line block ×4, first 2 shown]
	v_mad_u64_u32 v[22:23], s[0:1], s6, v50, 0
	v_mad_u64_u32 v[26:27], s[2:3], s4, v51, 0
	v_mov_b32_e32 v40, v23
	v_mov_b32_e32 v42, v27
	v_mad_u64_u32 v[40:41], s[6:7], s7, v50, v[40:41]
	v_mov_b32_e32 v18, s12
	v_mov_b32_e32 v19, s13
	;; [unrolled: 3-line block ×3, first 2 shown]
	v_lshl_add_u64 v[18:19], v[22:23], 3, v[18:19]
	v_mov_b32_e32 v44, 0x120
	v_lshl_add_u64 v[18:19], v[26:27], 3, v[18:19]
	s_mul_i32 s2, s5, 0x120
	v_mad_u64_u32 v[22:23], s[6:7], s4, v44, v[18:19]
	s_mov_b32 s0, 0x1c71c71c
	v_add_u32_e32 v23, s2, v23
	s_mov_b32 s1, 0x3f5c71c7
	v_mad_u64_u32 v[26:27], s[6:7], s4, v44, v[22:23]
	v_add_u32_e32 v27, s2, v27
	v_mad_u64_u32 v[40:41], s[6:7], s4, v44, v[26:27]
	v_add_u32_e32 v41, s2, v41
	v_mov_b32_e32 v49, 0
	s_movk_i32 s3, 0x1000
	s_waitcnt vmcnt(9) lgkmcnt(3)
	v_mul_f32_e32 v42, v25, v9
	v_mul_f32_e32 v9, v24, v9
	s_waitcnt vmcnt(8) lgkmcnt(1)
	v_mul_f32_e32 v43, v1, v11
	v_mul_f32_e32 v11, v0, v11
	s_waitcnt vmcnt(7)
	v_mul_f32_e32 v45, v3, v15
	v_mul_f32_e32 v15, v2, v15
	s_waitcnt vmcnt(6) lgkmcnt(0)
	v_mul_f32_e32 v46, v5, v17
	v_mul_f32_e32 v17, v4, v17
	v_fmac_f32_e32 v42, v24, v8
	v_fma_f32 v8, v8, v25, -v9
	v_fmac_f32_e32 v43, v0, v10
	v_fma_f32 v9, v10, v1, -v11
	;; [unrolled: 2-line block ×4, first 2 shown]
	v_cvt_f64_f32_e32 v[0:1], v42
	v_cvt_f64_f32_e32 v[2:3], v8
	;; [unrolled: 1-line block ×8, first 2 shown]
	v_mul_f64 v[0:1], v[0:1], s[0:1]
	v_mul_f64 v[2:3], v[2:3], s[0:1]
	;; [unrolled: 1-line block ×8, first 2 shown]
	v_cvt_f32_f64_e32 v0, v[0:1]
	v_cvt_f32_f64_e32 v1, v[2:3]
	;; [unrolled: 1-line block ×8, first 2 shown]
	global_store_dwordx2 v[18:19], v[0:1], off
	global_store_dwordx2 v[22:23], v[2:3], off
	;; [unrolled: 1-line block ×4, first 2 shown]
	s_waitcnt vmcnt(9)
	v_mul_f32_e32 v0, v7, v21
	v_fmac_f32_e32 v0, v6, v20
	v_cvt_f64_f32_e32 v[0:1], v0
	v_mul_f64 v[0:1], v[0:1], s[0:1]
	v_cvt_f32_f64_e32 v4, v[0:1]
	v_mul_f32_e32 v0, v6, v21
	v_fma_f32 v0, v20, v7, -v0
	global_load_dwordx2 v[6:7], v48, s[8:9] offset:2880
	global_load_dwordx2 v[10:11], v48, s[8:9] offset:3168
	v_cvt_f64_f32_e32 v[0:1], v0
	v_mul_f64 v[0:1], v[0:1], s[0:1]
	v_cvt_f32_f64_e32 v5, v[0:1]
	ds_read2_b64 v[0:3], v48 offset0:180 offset1:216
	v_mad_u64_u32 v[8:9], s[6:7], s4, v44, v[40:41]
	v_add_u32_e32 v9, s2, v9
	global_store_dwordx2 v[8:9], v[4:5], off
	s_waitcnt vmcnt(11) lgkmcnt(0)
	v_mul_f32_e32 v4, v1, v29
	v_fmac_f32_e32 v4, v0, v28
	v_mul_f32_e32 v0, v0, v29
	v_fma_f32 v0, v28, v1, -v0
	v_cvt_f64_f32_e32 v[4:5], v4
	v_cvt_f64_f32_e32 v[0:1], v0
	v_mul_f64 v[4:5], v[4:5], s[0:1]
	v_mul_f64 v[0:1], v[0:1], s[0:1]
	v_cvt_f32_f64_e32 v4, v[4:5]
	v_cvt_f32_f64_e32 v5, v[0:1]
	s_waitcnt vmcnt(10)
	v_mul_f32_e32 v0, v3, v33
	v_fmac_f32_e32 v0, v2, v32
	v_mad_u64_u32 v[8:9], s[6:7], s4, v44, v[8:9]
	v_cvt_f64_f32_e32 v[0:1], v0
	v_add_u32_e32 v9, s2, v9
	v_mul_f64 v[0:1], v[0:1], s[0:1]
	global_store_dwordx2 v[8:9], v[4:5], off
	v_cvt_f32_f64_e32 v4, v[0:1]
	v_mul_f32_e32 v0, v2, v33
	v_fma_f32 v0, v32, v3, -v0
	v_cvt_f64_f32_e32 v[0:1], v0
	v_mul_f64 v[0:1], v[0:1], s[0:1]
	v_cvt_f32_f64_e32 v5, v[0:1]
	ds_read2_b64 v[0:3], v13 offset0:124 offset1:196
	v_mad_u64_u32 v[8:9], s[6:7], s4, v44, v[8:9]
	v_add_u32_e32 v9, s2, v9
	global_store_dwordx2 v[8:9], v[4:5], off
	s_waitcnt vmcnt(11) lgkmcnt(0)
	v_mul_f32_e32 v4, v1, v35
	v_fmac_f32_e32 v4, v0, v34
	v_mul_f32_e32 v0, v0, v35
	v_fma_f32 v0, v34, v1, -v0
	v_cvt_f64_f32_e32 v[4:5], v4
	v_cvt_f64_f32_e32 v[0:1], v0
	v_mul_f64 v[4:5], v[4:5], s[0:1]
	v_mul_f64 v[0:1], v[0:1], s[0:1]
	v_cvt_f32_f64_e32 v4, v[4:5]
	v_cvt_f32_f64_e32 v5, v[0:1]
	v_mad_u64_u32 v[0:1], s[6:7], s4, v44, v[8:9]
	v_add_u32_e32 v1, s2, v1
	global_store_dwordx2 v[0:1], v[4:5], off
	s_waitcnt vmcnt(11)
	v_mul_f32_e32 v4, v31, v37
	v_fmac_f32_e32 v4, v30, v36
	v_cvt_f64_f32_e32 v[4:5], v4
	v_mul_f64 v[4:5], v[4:5], s[0:1]
	v_cvt_f32_f64_e32 v4, v[4:5]
	v_mul_f32_e32 v5, v30, v37
	v_fma_f32 v5, v36, v31, -v5
	v_cvt_f64_f32_e32 v[8:9], v5
	v_mul_f64 v[8:9], v[8:9], s[0:1]
	v_cvt_f32_f64_e32 v5, v[8:9]
	v_mad_u64_u32 v[8:9], s[6:7], s4, v44, v[0:1]
	s_waitcnt vmcnt(10)
	v_mul_f32_e32 v0, v3, v39
	v_fmac_f32_e32 v0, v2, v38
	v_cvt_f64_f32_e32 v[0:1], v0
	v_add_u32_e32 v9, s2, v9
	v_mul_f64 v[0:1], v[0:1], s[0:1]
	global_store_dwordx2 v[8:9], v[4:5], off
	v_cvt_f32_f64_e32 v4, v[0:1]
	v_mul_f32_e32 v0, v2, v39
	v_fma_f32 v0, v38, v3, -v0
	v_cvt_f64_f32_e32 v[0:1], v0
	v_mul_f64 v[0:1], v[0:1], s[0:1]
	v_cvt_f32_f64_e32 v5, v[0:1]
	ds_read2_b64 v[0:3], v12 offset0:104 offset1:140
	v_mad_u64_u32 v[8:9], s[6:7], s4, v44, v[8:9]
	v_add_u32_e32 v9, s2, v9
	global_store_dwordx2 v[8:9], v[4:5], off
	s_waitcnt vmcnt(7) lgkmcnt(0)
	v_mul_f32_e32 v4, v1, v7
	v_fmac_f32_e32 v4, v0, v6
	v_mul_f32_e32 v0, v0, v7
	v_fma_f32 v0, v6, v1, -v0
	v_cvt_f64_f32_e32 v[4:5], v4
	v_cvt_f64_f32_e32 v[0:1], v0
	v_mul_f64 v[4:5], v[4:5], s[0:1]
	v_mul_f64 v[0:1], v[0:1], s[0:1]
	v_cvt_f32_f64_e32 v4, v[4:5]
	v_cvt_f32_f64_e32 v5, v[0:1]
	v_mad_u64_u32 v[0:1], s[6:7], s4, v44, v[8:9]
	v_add_u32_e32 v1, s2, v1
	global_store_dwordx2 v[0:1], v[4:5], off
	s_waitcnt vmcnt(7)
	v_mul_f32_e32 v4, v3, v11
	v_fmac_f32_e32 v4, v2, v10
	v_mul_f32_e32 v2, v2, v11
	v_fma_f32 v2, v10, v3, -v2
	v_cvt_f64_f32_e32 v[4:5], v4
	v_cvt_f64_f32_e32 v[2:3], v2
	v_mul_f64 v[4:5], v[4:5], s[0:1]
	v_mul_f64 v[2:3], v[2:3], s[0:1]
	v_mad_u64_u32 v[6:7], s[6:7], s4, v44, v[0:1]
	v_cvt_f32_f64_e32 v4, v[4:5]
	v_cvt_f32_f64_e32 v5, v[2:3]
	v_add_u32_e32 v7, s2, v7
	global_store_dwordx2 v[6:7], v[4:5], off
	global_load_dwordx2 v[4:5], v48, s[8:9] offset:3456
	ds_read2_b64 v[0:3], v12 offset0:176 offset1:212
	s_waitcnt vmcnt(0) lgkmcnt(0)
	v_mul_f32_e32 v8, v1, v5
	v_fmac_f32_e32 v8, v0, v4
	v_mul_f32_e32 v0, v0, v5
	v_fma_f32 v0, v4, v1, -v0
	v_cvt_f64_f32_e32 v[8:9], v8
	v_cvt_f64_f32_e32 v[0:1], v0
	v_mul_f64 v[8:9], v[8:9], s[0:1]
	v_mul_f64 v[0:1], v[0:1], s[0:1]
	v_cvt_f32_f64_e32 v8, v[8:9]
	v_cvt_f32_f64_e32 v9, v[0:1]
	v_mad_u64_u32 v[0:1], s[6:7], s4, v44, v[6:7]
	v_add_u32_e32 v1, s2, v1
	global_store_dwordx2 v[0:1], v[8:9], off
	global_load_dwordx2 v[4:5], v48, s[8:9] offset:3744
	v_mad_u64_u32 v[6:7], s[6:7], s4, v44, v[0:1]
	v_add_u32_e32 v7, s2, v7
	v_lshl_add_u64 v[8:9], s[8:9], 0, v[48:49]
	v_add_co_u32_e32 v8, vcc, s3, v8
	s_waitcnt vmcnt(0)
	v_mul_f32_e32 v0, v3, v5
	v_mul_f32_e32 v1, v2, v5
	v_fmac_f32_e32 v0, v2, v4
	v_fma_f32 v2, v4, v3, -v1
	v_cvt_f64_f32_e32 v[0:1], v0
	v_cvt_f64_f32_e32 v[2:3], v2
	v_mul_f64 v[0:1], v[0:1], s[0:1]
	v_mul_f64 v[2:3], v[2:3], s[0:1]
	v_cvt_f32_f64_e32 v0, v[0:1]
	v_cvt_f32_f64_e32 v1, v[2:3]
	global_store_dwordx2 v[6:7], v[0:1], off
	global_load_dwordx2 v[4:5], v48, s[8:9] offset:4032
	v_add_u32_e32 v0, 0xc00, v48
	ds_read2_b64 v[0:3], v0 offset0:120 offset1:156
	v_mad_u64_u32 v[6:7], s[6:7], s4, v44, v[6:7]
	v_add_u32_e32 v7, s2, v7
	v_addc_co_u32_e32 v9, vcc, 0, v9, vcc
	s_waitcnt vmcnt(0) lgkmcnt(0)
	v_mul_f32_e32 v10, v1, v5
	v_mul_f32_e32 v5, v0, v5
	v_fmac_f32_e32 v10, v0, v4
	v_fma_f32 v4, v4, v1, -v5
	v_cvt_f64_f32_e32 v[0:1], v10
	v_cvt_f64_f32_e32 v[4:5], v4
	v_mul_f64 v[0:1], v[0:1], s[0:1]
	v_mul_f64 v[4:5], v[4:5], s[0:1]
	v_cvt_f32_f64_e32 v0, v[0:1]
	v_cvt_f32_f64_e32 v1, v[4:5]
	global_store_dwordx2 v[6:7], v[0:1], off
	global_load_dwordx2 v[0:1], v[8:9], off offset:224
	v_mad_u64_u32 v[4:5], s[4:5], s4, v44, v[6:7]
	v_add_u32_e32 v5, s2, v5
	s_waitcnt vmcnt(0)
	v_mul_f32_e32 v6, v3, v1
	v_mul_f32_e32 v1, v2, v1
	v_fmac_f32_e32 v6, v2, v0
	v_fma_f32 v2, v0, v3, -v1
	v_cvt_f64_f32_e32 v[0:1], v6
	v_cvt_f64_f32_e32 v[2:3], v2
	v_mul_f64 v[0:1], v[0:1], s[0:1]
	v_mul_f64 v[2:3], v[2:3], s[0:1]
	v_cvt_f32_f64_e32 v0, v[0:1]
	v_cvt_f32_f64_e32 v1, v[2:3]
	global_store_dwordx2 v[4:5], v[0:1], off
.LBB0_15:
	s_endpgm
	.section	.rodata,"a",@progbits
	.p2align	6, 0x0
	.amdhsa_kernel bluestein_single_back_len576_dim1_sp_op_CI_CI
		.amdhsa_group_segment_fixed_size 4608
		.amdhsa_private_segment_fixed_size 0
		.amdhsa_kernarg_size 104
		.amdhsa_user_sgpr_count 2
		.amdhsa_user_sgpr_dispatch_ptr 0
		.amdhsa_user_sgpr_queue_ptr 0
		.amdhsa_user_sgpr_kernarg_segment_ptr 1
		.amdhsa_user_sgpr_dispatch_id 0
		.amdhsa_user_sgpr_kernarg_preload_length 0
		.amdhsa_user_sgpr_kernarg_preload_offset 0
		.amdhsa_user_sgpr_private_segment_size 0
		.amdhsa_uses_dynamic_stack 0
		.amdhsa_enable_private_segment 0
		.amdhsa_system_sgpr_workgroup_id_x 1
		.amdhsa_system_sgpr_workgroup_id_y 0
		.amdhsa_system_sgpr_workgroup_id_z 0
		.amdhsa_system_sgpr_workgroup_info 0
		.amdhsa_system_vgpr_workitem_id 0
		.amdhsa_next_free_vgpr 106
		.amdhsa_next_free_sgpr 18
		.amdhsa_accum_offset 108
		.amdhsa_reserve_vcc 1
		.amdhsa_float_round_mode_32 0
		.amdhsa_float_round_mode_16_64 0
		.amdhsa_float_denorm_mode_32 3
		.amdhsa_float_denorm_mode_16_64 3
		.amdhsa_dx10_clamp 1
		.amdhsa_ieee_mode 1
		.amdhsa_fp16_overflow 0
		.amdhsa_tg_split 0
		.amdhsa_exception_fp_ieee_invalid_op 0
		.amdhsa_exception_fp_denorm_src 0
		.amdhsa_exception_fp_ieee_div_zero 0
		.amdhsa_exception_fp_ieee_overflow 0
		.amdhsa_exception_fp_ieee_underflow 0
		.amdhsa_exception_fp_ieee_inexact 0
		.amdhsa_exception_int_div_zero 0
	.end_amdhsa_kernel
	.text
.Lfunc_end0:
	.size	bluestein_single_back_len576_dim1_sp_op_CI_CI, .Lfunc_end0-bluestein_single_back_len576_dim1_sp_op_CI_CI
                                        ; -- End function
	.section	.AMDGPU.csdata,"",@progbits
; Kernel info:
; codeLenInByte = 8036
; NumSgprs: 24
; NumVgprs: 106
; NumAgprs: 0
; TotalNumVgprs: 106
; ScratchSize: 0
; MemoryBound: 0
; FloatMode: 240
; IeeeMode: 1
; LDSByteSize: 4608 bytes/workgroup (compile time only)
; SGPRBlocks: 2
; VGPRBlocks: 13
; NumSGPRsForWavesPerEU: 24
; NumVGPRsForWavesPerEU: 106
; AccumOffset: 108
; Occupancy: 4
; WaveLimiterHint : 1
; COMPUTE_PGM_RSRC2:SCRATCH_EN: 0
; COMPUTE_PGM_RSRC2:USER_SGPR: 2
; COMPUTE_PGM_RSRC2:TRAP_HANDLER: 0
; COMPUTE_PGM_RSRC2:TGID_X_EN: 1
; COMPUTE_PGM_RSRC2:TGID_Y_EN: 0
; COMPUTE_PGM_RSRC2:TGID_Z_EN: 0
; COMPUTE_PGM_RSRC2:TIDIG_COMP_CNT: 0
; COMPUTE_PGM_RSRC3_GFX90A:ACCUM_OFFSET: 26
; COMPUTE_PGM_RSRC3_GFX90A:TG_SPLIT: 0
	.text
	.p2alignl 6, 3212836864
	.fill 256, 4, 3212836864
	.type	__hip_cuid_7cb8952c2cfe6053,@object ; @__hip_cuid_7cb8952c2cfe6053
	.section	.bss,"aw",@nobits
	.globl	__hip_cuid_7cb8952c2cfe6053
__hip_cuid_7cb8952c2cfe6053:
	.byte	0                               ; 0x0
	.size	__hip_cuid_7cb8952c2cfe6053, 1

	.ident	"AMD clang version 19.0.0git (https://github.com/RadeonOpenCompute/llvm-project roc-6.4.0 25133 c7fe45cf4b819c5991fe208aaa96edf142730f1d)"
	.section	".note.GNU-stack","",@progbits
	.addrsig
	.addrsig_sym __hip_cuid_7cb8952c2cfe6053
	.amdgpu_metadata
---
amdhsa.kernels:
  - .agpr_count:     0
    .args:
      - .actual_access:  read_only
        .address_space:  global
        .offset:         0
        .size:           8
        .value_kind:     global_buffer
      - .actual_access:  read_only
        .address_space:  global
        .offset:         8
        .size:           8
        .value_kind:     global_buffer
      - .actual_access:  read_only
        .address_space:  global
        .offset:         16
        .size:           8
        .value_kind:     global_buffer
      - .actual_access:  read_only
        .address_space:  global
        .offset:         24
        .size:           8
        .value_kind:     global_buffer
      - .actual_access:  read_only
        .address_space:  global
        .offset:         32
        .size:           8
        .value_kind:     global_buffer
      - .offset:         40
        .size:           8
        .value_kind:     by_value
      - .address_space:  global
        .offset:         48
        .size:           8
        .value_kind:     global_buffer
      - .address_space:  global
        .offset:         56
        .size:           8
        .value_kind:     global_buffer
      - .address_space:  global
        .offset:         64
        .size:           8
        .value_kind:     global_buffer
      - .address_space:  global
        .offset:         72
        .size:           8
        .value_kind:     global_buffer
      - .offset:         80
        .size:           4
        .value_kind:     by_value
      - .address_space:  global
        .offset:         88
        .size:           8
        .value_kind:     global_buffer
      - .address_space:  global
        .offset:         96
        .size:           8
        .value_kind:     global_buffer
    .group_segment_fixed_size: 4608
    .kernarg_segment_align: 8
    .kernarg_segment_size: 104
    .language:       OpenCL C
    .language_version:
      - 2
      - 0
    .max_flat_workgroup_size: 96
    .name:           bluestein_single_back_len576_dim1_sp_op_CI_CI
    .private_segment_fixed_size: 0
    .sgpr_count:     24
    .sgpr_spill_count: 0
    .symbol:         bluestein_single_back_len576_dim1_sp_op_CI_CI.kd
    .uniform_work_group_size: 1
    .uses_dynamic_stack: false
    .vgpr_count:     106
    .vgpr_spill_count: 0
    .wavefront_size: 64
amdhsa.target:   amdgcn-amd-amdhsa--gfx950
amdhsa.version:
  - 1
  - 2
...

	.end_amdgpu_metadata
